;; amdgpu-corpus repo=zjin-lcf/HeCBench kind=compiled arch=gfx1250 opt=O3
	.amdgcn_target "amdgcn-amd-amdhsa--gfx1250"
	.amdhsa_code_object_version 6
	.text
	.protected	_Z11sortElementP15HIP_vector_typeIfLj4EES1_i ; -- Begin function _Z11sortElementP15HIP_vector_typeIfLj4EES1_i
	.globl	_Z11sortElementP15HIP_vector_typeIfLj4EES1_i
	.p2align	8
	.type	_Z11sortElementP15HIP_vector_typeIfLj4EES1_i,@function
_Z11sortElementP15HIP_vector_typeIfLj4EES1_i: ; @_Z11sortElementP15HIP_vector_typeIfLj4EES1_i
; %bb.0:
	s_clause 0x1
	s_load_b32 s2, s[0:1], 0x24
	s_load_b32 s3, s[0:1], 0x10
	s_bfe_u32 s4, ttmp6, 0x4000c
	s_and_b32 s5, ttmp6, 15
	s_add_co_i32 s4, s4, 1
	s_getreg_b32 s6, hwreg(HW_REG_IB_STS2, 6, 4)
	s_mul_i32 s4, ttmp9, s4
	s_delay_alu instid0(SALU_CYCLE_1) | instskip(SKIP_4) | instid1(SALU_CYCLE_1)
	s_add_co_i32 s5, s5, s4
	s_wait_kmcnt 0x0
	s_and_b32 s2, s2, 0xffff
	s_cmp_eq_u32 s6, 0
	s_cselect_b32 s4, ttmp9, s5
	v_mad_u32 v0, s4, s2, v0
	s_mov_b32 s2, exec_lo
	s_delay_alu instid0(VALU_DEP_1)
	v_cmpx_gt_i32_e64 s3, v0
	s_cbranch_execz .LBB0_2
; %bb.1:
	s_load_b128 s[0:3], s[0:1], 0x0
	s_wait_kmcnt 0x0
	global_load_b128 v[2:5], v0, s[2:3] scale_offset
	s_wait_loadcnt 0x0
	v_cmp_gt_f32_e32 vcc_lo, v3, v2
	v_cndmask_b32_e32 v1, v2, v3, vcc_lo
	v_cmp_gt_f32_e32 vcc_lo, v4, v5
	v_cndmask_b32_e32 v6, v4, v5, vcc_lo
	;; [unrolled: 2-line block ×4, first 2 shown]
	s_delay_alu instid0(VALU_DEP_3) | instskip(SKIP_1) | instid1(VALU_DEP_3)
	v_cmp_gt_f32_e32 vcc_lo, v1, v5
	v_cndmask_b32_e32 v4, v1, v5, vcc_lo
	v_cmp_gt_f32_e32 vcc_lo, v6, v2
	v_cndmask_b32_e32 v7, v2, v6, vcc_lo
	;; [unrolled: 2-line block ×3, first 2 shown]
	s_delay_alu instid0(VALU_DEP_3)
	v_cmp_gt_f32_e32 vcc_lo, v4, v7
	v_cndmask_b32_e32 v3, v4, v7, vcc_lo
	v_cmp_gt_f32_e32 vcc_lo, v7, v4
	v_cndmask_b32_e32 v4, v4, v7, vcc_lo
	;; [unrolled: 2-line block ×3, first 2 shown]
	global_store_b128 v0, v[2:5], s[0:1] scale_offset
.LBB0_2:
	s_endpgm
	.section	.rodata,"a",@progbits
	.p2align	6, 0x0
	.amdhsa_kernel _Z11sortElementP15HIP_vector_typeIfLj4EES1_i
		.amdhsa_group_segment_fixed_size 0
		.amdhsa_private_segment_fixed_size 0
		.amdhsa_kernarg_size 280
		.amdhsa_user_sgpr_count 2
		.amdhsa_user_sgpr_dispatch_ptr 0
		.amdhsa_user_sgpr_queue_ptr 0
		.amdhsa_user_sgpr_kernarg_segment_ptr 1
		.amdhsa_user_sgpr_dispatch_id 0
		.amdhsa_user_sgpr_kernarg_preload_length 0
		.amdhsa_user_sgpr_kernarg_preload_offset 0
		.amdhsa_user_sgpr_private_segment_size 0
		.amdhsa_wavefront_size32 1
		.amdhsa_uses_dynamic_stack 0
		.amdhsa_enable_private_segment 0
		.amdhsa_system_sgpr_workgroup_id_x 1
		.amdhsa_system_sgpr_workgroup_id_y 0
		.amdhsa_system_sgpr_workgroup_id_z 0
		.amdhsa_system_sgpr_workgroup_info 0
		.amdhsa_system_vgpr_workitem_id 0
		.amdhsa_next_free_vgpr 8
		.amdhsa_next_free_sgpr 7
		.amdhsa_named_barrier_count 0
		.amdhsa_reserve_vcc 1
		.amdhsa_float_round_mode_32 0
		.amdhsa_float_round_mode_16_64 0
		.amdhsa_float_denorm_mode_32 3
		.amdhsa_float_denorm_mode_16_64 3
		.amdhsa_fp16_overflow 0
		.amdhsa_memory_ordered 1
		.amdhsa_forward_progress 1
		.amdhsa_inst_pref_size 2
		.amdhsa_round_robin_scheduling 0
		.amdhsa_exception_fp_ieee_invalid_op 0
		.amdhsa_exception_fp_denorm_src 0
		.amdhsa_exception_fp_ieee_div_zero 0
		.amdhsa_exception_fp_ieee_overflow 0
		.amdhsa_exception_fp_ieee_underflow 0
		.amdhsa_exception_fp_ieee_inexact 0
		.amdhsa_exception_int_div_zero 0
	.end_amdhsa_kernel
	.text
.Lfunc_end0:
	.size	_Z11sortElementP15HIP_vector_typeIfLj4EES1_i, .Lfunc_end0-_Z11sortElementP15HIP_vector_typeIfLj4EES1_i
                                        ; -- End function
	.set _Z11sortElementP15HIP_vector_typeIfLj4EES1_i.num_vgpr, 8
	.set _Z11sortElementP15HIP_vector_typeIfLj4EES1_i.num_agpr, 0
	.set _Z11sortElementP15HIP_vector_typeIfLj4EES1_i.numbered_sgpr, 7
	.set _Z11sortElementP15HIP_vector_typeIfLj4EES1_i.num_named_barrier, 0
	.set _Z11sortElementP15HIP_vector_typeIfLj4EES1_i.private_seg_size, 0
	.set _Z11sortElementP15HIP_vector_typeIfLj4EES1_i.uses_vcc, 1
	.set _Z11sortElementP15HIP_vector_typeIfLj4EES1_i.uses_flat_scratch, 0
	.set _Z11sortElementP15HIP_vector_typeIfLj4EES1_i.has_dyn_sized_stack, 0
	.set _Z11sortElementP15HIP_vector_typeIfLj4EES1_i.has_recursion, 0
	.set _Z11sortElementP15HIP_vector_typeIfLj4EES1_i.has_indirect_call, 0
	.section	.AMDGPU.csdata,"",@progbits
; Kernel info:
; codeLenInByte = 232
; TotalNumSgprs: 9
; NumVgprs: 8
; ScratchSize: 0
; MemoryBound: 0
; FloatMode: 240
; IeeeMode: 1
; LDSByteSize: 0 bytes/workgroup (compile time only)
; SGPRBlocks: 0
; VGPRBlocks: 0
; NumSGPRsForWavesPerEU: 9
; NumVGPRsForWavesPerEU: 8
; NamedBarCnt: 0
; Occupancy: 16
; WaveLimiterHint : 0
; COMPUTE_PGM_RSRC2:SCRATCH_EN: 0
; COMPUTE_PGM_RSRC2:USER_SGPR: 2
; COMPUTE_PGM_RSRC2:TRAP_HANDLER: 0
; COMPUTE_PGM_RSRC2:TGID_X_EN: 1
; COMPUTE_PGM_RSRC2:TGID_Y_EN: 0
; COMPUTE_PGM_RSRC2:TGID_Z_EN: 0
; COMPUTE_PGM_RSRC2:TIDIG_COMP_CNT: 0
	.text
	.protected	_Z13mergeSortPassPK15HIP_vector_typeIfLj4EEPS0_PKiiii ; -- Begin function _Z13mergeSortPassPK15HIP_vector_typeIfLj4EEPS0_PKiiii
	.globl	_Z13mergeSortPassPK15HIP_vector_typeIfLj4EEPS0_PKiiii
	.p2align	8
	.type	_Z13mergeSortPassPK15HIP_vector_typeIfLj4EEPS0_PKiiii,@function
_Z13mergeSortPassPK15HIP_vector_typeIfLj4EEPS0_PKiiii: ; @_Z13mergeSortPassPK15HIP_vector_typeIfLj4EEPS0_PKiiii
; %bb.0:
	s_clause 0x1
	s_load_b32 s2, s[0:1], 0x34
	s_load_b96 s[4:6], s[0:1], 0x18
	s_bfe_u32 s3, ttmp6, 0x4000c
	s_and_b32 s7, ttmp6, 15
	s_add_co_i32 s3, s3, 1
	s_getreg_b32 s8, hwreg(HW_REG_IB_STS2, 6, 4)
	s_mul_i32 s3, ttmp9, s3
	s_delay_alu instid0(SALU_CYCLE_1)
	s_add_co_i32 s7, s7, s3
	s_wait_kmcnt 0x0
	s_and_b32 s2, s2, 0xffff
	s_cmp_eq_u32 s8, 0
	s_cselect_b32 s3, ttmp9, s7
	s_abs_i32 s7, s4
	v_mad_u32 v4, s3, s2, v0
	s_cvt_f32_u32 s8, s7
	s_sub_co_i32 s3, 0, s7
	s_delay_alu instid0(SALU_CYCLE_2) | instskip(NEXT) | instid1(VALU_DEP_1)
	v_rcp_iflag_f32_e32 v1, s8
	v_sub_nc_u32_e32 v0, 0, v4
	s_delay_alu instid0(TRANS32_DEP_1) | instskip(NEXT) | instid1(VALU_DEP_2)
	v_readfirstlane_b32 s2, v1
	v_max_i32_e32 v0, v4, v0
	s_mul_f32 s2, s2, 0x4f7ffffe
	s_delay_alu instid0(SALU_CYCLE_3) | instskip(NEXT) | instid1(SALU_CYCLE_3)
	s_cvt_u32_f32 s2, s2
	s_mul_i32 s3, s3, s2
	s_delay_alu instid0(SALU_CYCLE_1) | instskip(NEXT) | instid1(SALU_CYCLE_1)
	s_mul_hi_u32 s3, s2, s3
	s_add_co_i32 s2, s2, s3
	s_delay_alu instid0(SALU_CYCLE_1) | instskip(SKIP_1) | instid1(VALU_DEP_1)
	v_mul_hi_u32 v1, v0, s2
	s_mov_b32 s2, exec_lo
	v_mul_lo_u32 v2, v1, s7
	s_delay_alu instid0(VALU_DEP_1) | instskip(NEXT) | instid1(VALU_DEP_1)
	v_dual_sub_nc_u32 v0, v0, v2 :: v_dual_add_nc_u32 v2, 1, v1
	v_cmp_le_u32_e32 vcc_lo, s7, v0
	s_delay_alu instid0(VALU_DEP_2) | instskip(SKIP_1) | instid1(VALU_DEP_1)
	v_dual_cndmask_b32 v1, v1, v2, vcc_lo :: v_dual_bitop2_b32 v2, s4, v4 bitop3:0x14
	v_subrev_nc_u32_e32 v3, s7, v0
	v_dual_cndmask_b32 v0, v0, v3 :: v_dual_add_nc_u32 v3, 1, v1
	s_delay_alu instid0(VALU_DEP_1) | instskip(NEXT) | instid1(VALU_DEP_2)
	v_cmp_le_u32_e32 vcc_lo, s7, v0
	v_dual_ashrrev_i32 v2, 31, v2 :: v_dual_cndmask_b32 v0, v1, v3, vcc_lo
	s_delay_alu instid0(VALU_DEP_1) | instskip(NEXT) | instid1(VALU_DEP_1)
	v_xor_b32_e32 v0, v0, v2
	v_sub_nc_u32_e32 v0, v0, v2
	s_delay_alu instid0(VALU_DEP_1)
	v_cmpx_gt_i32_e32 0x400, v0
	s_cbranch_execz .LBB1_21
; %bb.1:
	s_load_b64 s[2:3], s[0:1], 0x10
	v_ashrrev_i32_e32 v1, 31, v0
	s_wait_kmcnt 0x0
	s_delay_alu instid0(VALU_DEP_1) | instskip(SKIP_4) | instid1(VALU_DEP_1)
	v_lshl_add_u64 v[16:17], v[0:1], 2, s[2:3]
	v_mul_lo_u32 v0, v0, s4
	global_load_b64 v[2:3], v[16:17], off
	v_sub_nc_u32_e32 v0, v4, v0
	s_wait_loadcnt 0x0
	v_mad_u32 v0, v0, s5, v2
	s_delay_alu instid0(VALU_DEP_1)
	v_cmp_lt_i32_e32 vcc_lo, v0, v3
	s_and_b32 exec_lo, exec_lo, vcc_lo
	s_cbranch_execz .LBB1_21
; %bb.2:
	s_load_b128 s[8:11], s[0:1], 0x0
	s_wait_xcnt 0x0
	s_lshr_b32 s0, s5, 31
	v_ashrrev_i32_e32 v1, 31, v0
	s_add_co_i32 s0, s5, s0
	s_delay_alu instid0(SALU_CYCLE_1) | instskip(SKIP_2) | instid1(VALU_DEP_1)
	s_ashr_i32 s12, s0, 1
	s_mov_b32 s0, exec_lo
	v_add_nc_u32_e32 v8, s12, v0
	v_cmpx_ge_i32_e64 v8, v3
	s_xor_b32 s0, exec_lo, s0
	s_cbranch_execz .LBB1_6
; %bb.3:
	s_wait_kmcnt 0x0
	v_lshl_add_u64 v[2:3], v[0:1], 4, s[10:11]
	s_mov_b32 s1, 0
	s_mov_b32 s2, 0
.LBB1_4:                                ; =>This Inner Loop Header: Depth=1
	s_delay_alu instid0(SALU_CYCLE_1)
	v_add_nc_u32_e32 v1, s2, v0
	s_add_co_i32 s2, s2, 1
	global_load_b128 v[4:7], v1, s[8:9] scale_offset
	s_wait_loadcnt 0x0
	global_store_b128 v[2:3], v[4:7], off
	global_load_b32 v1, v[16:17], off offset:4
	s_wait_xcnt 0x1
	v_add_nc_u64_e32 v[2:3], 16, v[2:3]
	s_wait_loadcnt 0x0
	v_sub_nc_u32_e32 v1, v1, v0
	s_delay_alu instid0(VALU_DEP_1)
	v_cmp_ge_i32_e32 vcc_lo, s2, v1
	s_or_b32 s1, vcc_lo, s1
	s_wait_xcnt 0x0
	s_and_not1_b32 exec_lo, exec_lo, s1
	s_cbranch_execnz .LBB1_4
; %bb.5:
	s_or_b32 exec_lo, exec_lo, s1
                                        ; implicit-def: $vgpr16_vgpr17
                                        ; implicit-def: $vgpr0_vgpr1
                                        ; implicit-def: $vgpr8
.LBB1_6:
	s_and_not1_saveexec_b32 s0, s0
	s_cbranch_execz .LBB1_21
; %bb.7:
	v_lshlrev_b64_e32 v[18:19], 4, v[0:1]
	s_ashr_i32 s13, s12, 31
	v_dual_mov_b32 v21, 0 :: v_dual_add_nc_u32 v34, 1, v8
	v_dual_mov_b32 v35, 0 :: v_dual_mov_b32 v26, 0
	s_mov_b32 s7, 0
	s_wait_kmcnt 0x0
	s_delay_alu instid0(VALU_DEP_3) | instskip(SKIP_2) | instid1(VALU_DEP_2)
	v_add_nc_u64_e32 v[10:11], s[8:9], v[18:19]
	v_mov_b32_e32 v20, v21
	s_mov_b32 s14, 0
	v_lshl_add_u64 v[12:13], s[12:13], 4, v[10:11]
                                        ; implicit-def: $sgpr13
	s_clause 0x1
	global_load_b128 v[0:3], v[10:11], off
	global_load_b128 v[4:7], v[12:13], off
.LBB1_8:                                ; =>This Loop Header: Depth=1
                                        ;     Child Loop BB1_10 Depth 2
	v_dual_add_nc_u32 v22, v34, v35 :: v_dual_add_nc_u32 v36, 1, v35
	v_ashrrev_i32_e32 v27, 31, v26
	v_lshl_add_u64 v[24:25], v[20:21], 4, s[10:11]
	s_mov_b32 s16, 0
	s_delay_alu instid0(VALU_DEP_3) | instskip(SKIP_3) | instid1(VALU_DEP_4)
	v_ashrrev_i32_e32 v23, 31, v22
	v_cmp_gt_i32_e64 s0, s12, v36
	v_lshl_add_u64 v[32:33], v[26:27], 4, s[8:9]
	v_cmp_gt_i32_e32 vcc_lo, s6, v22
                                        ; implicit-def: $sgpr15
	v_lshl_add_u64 v[28:29], v[22:23], 4, s[8:9]
	s_branch .LBB1_10
.LBB1_9:                                ;   in Loop: Header=BB1_10 Depth=2
	s_or_b32 exec_lo, exec_lo, s20
	s_xor_b32 s5, s17, -1
	v_dual_cndmask_b32 v4, v4, v7, s1 :: v_dual_cndmask_b32 v7, v5, v6, s2
	s_xor_b32 s1, s19, -1
	s_and_b32 s2, exec_lo, s18
	v_dual_cndmask_b32 v5, v27, v37, s3 :: v_dual_cndmask_b32 v6, v27, v37, s4
	v_add_nc_u32_e32 v20, 1, v20
	s_or_b32 s16, s2, s16
	s_and_not1_b32 s2, s15, exec_lo
	s_and_b32 s1, s1, exec_lo
	s_and_not1_b32 s3, s13, exec_lo
	s_and_b32 s4, s5, exec_lo
	s_or_b32 s15, s2, s1
	s_or_b32 s13, s3, s4
	s_and_not1_b32 exec_lo, exec_lo, s16
	s_cbranch_execz .LBB1_16
.LBB1_10:                               ;   Parent Loop BB1_8 Depth=1
                                        ; =>  This Inner Loop Header: Depth=2
	s_wait_loadcnt 0x0
	v_add_nc_u64_e32 v[8:9], v[32:33], v[18:19]
	s_wait_xcnt 0x1
	v_dual_mov_b32 v23, v26 :: v_dual_mov_b32 v11, 0
	v_mov_b32_e32 v10, 0
	global_load_b128 v[12:15], v[8:9], off offset:16
	s_wait_xcnt 0x0
	v_dual_mov_b32 v8, 0 :: v_dual_mov_b32 v9, 0
	s_and_saveexec_b32 s1, vcc_lo
	s_cbranch_execz .LBB1_12
; %bb.11:                               ;   in Loop: Header=BB1_10 Depth=2
	global_load_b128 v[8:11], v[28:29], off
.LBB1_12:                               ;   in Loop: Header=BB1_10 Depth=2
	s_wait_xcnt 0x0
	s_or_b32 exec_lo, exec_lo, s1
	s_wait_loadcnt 0x1
	v_cmp_lt_f32_e64 s1, v2, v5
	s_mov_b32 s17, 0
	v_cndmask_b32_e64 v26, v5, v2, s1
	v_cmp_lt_f32_e64 s1, v3, v4
	s_delay_alu instid0(VALU_DEP_1) | instskip(SKIP_1) | instid1(VALU_DEP_1)
	v_cndmask_b32_e64 v27, v4, v3, s1
	v_cmp_lt_f32_e64 s1, v0, v7
	v_cndmask_b32_e64 v30, v7, v0, s1
	v_cmp_lt_f32_e64 s1, v1, v6
	s_delay_alu instid0(VALU_DEP_1) | instskip(SKIP_1) | instid1(VALU_DEP_1)
	v_cndmask_b32_e64 v31, v6, v1, s1
	v_cmp_lt_f32_e64 s1, v26, v27
	v_cndmask_b32_e64 v37, v26, v27, s1
	s_delay_alu instid0(VALU_DEP_3) | instskip(NEXT) | instid1(VALU_DEP_1)
	v_cmp_gt_f32_e64 s1, v31, v30
	v_cndmask_b32_e64 v41, v30, v31, s1
	v_cmp_gt_f32_e64 s1, v26, v27
	s_delay_alu instid0(VALU_DEP_1) | instskip(SKIP_1) | instid1(VALU_DEP_1)
	v_cndmask_b32_e64 v26, v26, v27, s1
	v_cmp_gt_f32_e64 s1, v30, v31
	v_cndmask_b32_e64 v27, v30, v31, s1
	v_cmp_gt_f32_e64 s1, v41, v37
	v_add_nc_u64_e32 v[30:31], v[24:25], v[18:19]
	s_delay_alu instid0(VALU_DEP_2) | instskip(NEXT) | instid1(VALU_DEP_4)
	v_cndmask_b32_e64 v40, v41, v37, s1
	v_cmp_gt_f32_e64 s1, v26, v27
	s_delay_alu instid0(VALU_DEP_1) | instskip(NEXT) | instid1(VALU_DEP_1)
	v_cndmask_b32_e64 v42, v27, v26, s1
	v_cmp_gt_f32_e64 s1, v40, v42
	s_delay_alu instid0(VALU_DEP_1) | instskip(SKIP_1) | instid1(VALU_DEP_1)
	v_cndmask_b32_e64 v39, v40, v42, s1
	v_cmp_gt_f32_e64 s1, v27, v26
	v_cndmask_b32_e64 v38, v27, v26, s1
	v_cmp_gt_f32_e64 s1, v42, v40
	s_delay_alu instid0(VALU_DEP_1) | instskip(SKIP_1) | instid1(VALU_DEP_1)
	v_cndmask_b32_e64 v40, v40, v42, s1
	v_cmp_gt_f32_e64 s1, v37, v41
	v_cndmask_b32_e64 v41, v41, v37, s1
	global_store_b128 v[30:31], v[38:41], off
	s_wait_xcnt 0x0
	s_and_saveexec_b32 s2, s0
	s_cbranch_execz .LBB1_14
; %bb.13:                               ;   in Loop: Header=BB1_10 Depth=2
	global_load_b32 v26, v[16:17], off offset:4
	s_wait_loadcnt 0x0
	v_cmp_lt_i32_e64 s1, v22, v26
	s_and_b32 s17, s1, exec_lo
.LBB1_14:                               ;   in Loop: Header=BB1_10 Depth=2
	s_wait_xcnt 0x0
	s_or_b32 exec_lo, exec_lo, s2
	v_cmp_ge_f32_e64 s1, v3, v4
	v_add_nc_u32_e32 v26, 1, v23
	s_mov_b32 s18, -1
	s_mov_b32 s19, -1
	s_mov_b32 s20, exec_lo
	v_cndmask_b32_e64 v3, v4, v3, s1
	v_cmp_ge_f32_e64 s1, v2, v5
	s_delay_alu instid0(VALU_DEP_1) | instskip(SKIP_1) | instid1(VALU_DEP_1)
	v_cndmask_b32_e64 v2, v5, v2, s1
	v_cmp_ge_f32_e64 s1, v1, v6
	v_cndmask_b32_e64 v1, v6, v1, s1
	v_cmp_ge_f32_e64 s1, v0, v7
	s_delay_alu instid0(VALU_DEP_1) | instskip(SKIP_1) | instid1(VALU_DEP_1)
	v_cndmask_b32_e64 v0, v7, v0, s1
	v_cmp_gt_f32_e64 s1, v3, v2
	v_cndmask_b32_e64 v4, v3, v2, s1
	v_cmp_gt_f32_e64 s1, v2, v3
	s_delay_alu instid0(VALU_DEP_1) | instskip(SKIP_1) | instid1(VALU_DEP_1)
	v_cndmask_b32_e64 v5, v3, v2, s1
	v_cmp_gt_f32_e64 s1, v0, v1
	v_cndmask_b32_e64 v6, v1, v0, s1
	v_cmp_gt_f32_e64 s1, v1, v0
	s_delay_alu instid0(VALU_DEP_1) | instskip(NEXT) | instid1(VALU_DEP_3)
	v_cndmask_b32_e64 v7, v1, v0, s1
	v_cmp_gt_f32_e64 s1, v5, v6
	v_cmp_gt_f32_e64 s2, v6, v5
                                        ; implicit-def: $vgpr0
	s_delay_alu instid0(VALU_DEP_2) | instskip(NEXT) | instid1(VALU_DEP_4)
	v_cndmask_b32_e64 v27, v5, v6, s1
	v_cmp_gt_f32_e64 s1, v7, v4
	s_delay_alu instid0(VALU_DEP_1) | instskip(SKIP_1) | instid1(VALU_DEP_2)
	v_cndmask_b32_e64 v37, v4, v7, s1
	v_cmp_gt_f32_e64 s1, v4, v7
	v_cmp_gt_f32_e64 s3, v27, v37
	;; [unrolled: 1-line block ×3, first 2 shown]
	v_cmpx_gt_i32_e64 s12, v26
	s_cbranch_execz .LBB1_9
; %bb.15:                               ;   in Loop: Header=BB1_10 Depth=2
	v_add_nc_u64_e32 v[24:25], 16, v[24:25]
	v_add_nc_u64_e32 v[32:33], 16, v[32:33]
	s_wait_loadcnt 0x0
	v_dual_mov_b32 v0, v12 :: v_dual_mov_b32 v1, v13
	v_dual_mov_b32 v2, v14 :: v_dual_mov_b32 v3, v15
	s_xor_b32 s19, exec_lo, -1
	s_or_not1_b32 s18, s17, exec_lo
	s_branch .LBB1_9
.LBB1_16:                               ;   in Loop: Header=BB1_8 Depth=1
	s_or_b32 exec_lo, exec_lo, s16
	s_mov_b32 s0, -1
	s_and_saveexec_b32 s1, s15
	s_delay_alu instid0(SALU_CYCLE_1)
	s_xor_b32 s1, exec_lo, s1
	s_cbranch_execz .LBB1_18
; %bb.17:                               ;   in Loop: Header=BB1_8 Depth=1
	s_wait_loadcnt 0x0
	v_cmp_lt_f32_e32 vcc_lo, v0, v8
	s_xor_b32 s0, exec_lo, -1
	v_dual_cndmask_b32 v26, v23, v26 :: v_dual_cndmask_b32 v35, v36, v35
	v_dual_cndmask_b32 v3, v11, v3 :: v_dual_cndmask_b32 v2, v10, v2
	;; [unrolled: 1-line block ×3, first 2 shown]
.LBB1_18:                               ;   in Loop: Header=BB1_8 Depth=1
	s_or_b32 exec_lo, exec_lo, s1
	s_delay_alu instid0(SALU_CYCLE_1) | instskip(NEXT) | instid1(SALU_CYCLE_1)
	s_and_b32 s0, exec_lo, s0
	s_or_b32 s14, s0, s14
	s_delay_alu instid0(SALU_CYCLE_1)
	s_and_not1_b32 exec_lo, exec_lo, s14
	s_cbranch_execnz .LBB1_8
; %bb.19:                               ;   in Loop: Header=BB1_8 Depth=1
	s_or_b32 exec_lo, exec_lo, s14
	s_wait_loadcnt 0x0
	v_dual_mov_b32 v0, v8 :: v_dual_mov_b32 v1, v9
	v_dual_mov_b32 v2, v10 :: v_dual_mov_b32 v3, v11
	;; [unrolled: 1-line block ×3, first 2 shown]
	s_and_b32 s0, exec_lo, s13
	s_mov_b32 s14, 0
	s_or_b32 s7, s0, s7
	s_delay_alu instid0(SALU_CYCLE_1)
	s_and_not1_b32 exec_lo, exec_lo, s7
	s_cbranch_execnz .LBB1_8
; %bb.20:
	s_or_b32 exec_lo, exec_lo, s7
	global_store_b128 v[30:31], v[4:7], off offset:16
.LBB1_21:
	s_endpgm
	.section	.rodata,"a",@progbits
	.p2align	6, 0x0
	.amdhsa_kernel _Z13mergeSortPassPK15HIP_vector_typeIfLj4EEPS0_PKiiii
		.amdhsa_group_segment_fixed_size 0
		.amdhsa_private_segment_fixed_size 0
		.amdhsa_kernarg_size 296
		.amdhsa_user_sgpr_count 2
		.amdhsa_user_sgpr_dispatch_ptr 0
		.amdhsa_user_sgpr_queue_ptr 0
		.amdhsa_user_sgpr_kernarg_segment_ptr 1
		.amdhsa_user_sgpr_dispatch_id 0
		.amdhsa_user_sgpr_kernarg_preload_length 0
		.amdhsa_user_sgpr_kernarg_preload_offset 0
		.amdhsa_user_sgpr_private_segment_size 0
		.amdhsa_wavefront_size32 1
		.amdhsa_uses_dynamic_stack 0
		.amdhsa_enable_private_segment 0
		.amdhsa_system_sgpr_workgroup_id_x 1
		.amdhsa_system_sgpr_workgroup_id_y 0
		.amdhsa_system_sgpr_workgroup_id_z 0
		.amdhsa_system_sgpr_workgroup_info 0
		.amdhsa_system_vgpr_workitem_id 0
		.amdhsa_next_free_vgpr 43
		.amdhsa_next_free_sgpr 21
		.amdhsa_named_barrier_count 0
		.amdhsa_reserve_vcc 1
		.amdhsa_float_round_mode_32 0
		.amdhsa_float_round_mode_16_64 0
		.amdhsa_float_denorm_mode_32 3
		.amdhsa_float_denorm_mode_16_64 3
		.amdhsa_fp16_overflow 0
		.amdhsa_memory_ordered 1
		.amdhsa_forward_progress 1
		.amdhsa_inst_pref_size 13
		.amdhsa_round_robin_scheduling 0
		.amdhsa_exception_fp_ieee_invalid_op 0
		.amdhsa_exception_fp_denorm_src 0
		.amdhsa_exception_fp_ieee_div_zero 0
		.amdhsa_exception_fp_ieee_overflow 0
		.amdhsa_exception_fp_ieee_underflow 0
		.amdhsa_exception_fp_ieee_inexact 0
		.amdhsa_exception_int_div_zero 0
	.end_amdhsa_kernel
	.text
.Lfunc_end1:
	.size	_Z13mergeSortPassPK15HIP_vector_typeIfLj4EEPS0_PKiiii, .Lfunc_end1-_Z13mergeSortPassPK15HIP_vector_typeIfLj4EEPS0_PKiiii
                                        ; -- End function
	.set _Z13mergeSortPassPK15HIP_vector_typeIfLj4EEPS0_PKiiii.num_vgpr, 43
	.set _Z13mergeSortPassPK15HIP_vector_typeIfLj4EEPS0_PKiiii.num_agpr, 0
	.set _Z13mergeSortPassPK15HIP_vector_typeIfLj4EEPS0_PKiiii.numbered_sgpr, 21
	.set _Z13mergeSortPassPK15HIP_vector_typeIfLj4EEPS0_PKiiii.num_named_barrier, 0
	.set _Z13mergeSortPassPK15HIP_vector_typeIfLj4EEPS0_PKiiii.private_seg_size, 0
	.set _Z13mergeSortPassPK15HIP_vector_typeIfLj4EEPS0_PKiiii.uses_vcc, 1
	.set _Z13mergeSortPassPK15HIP_vector_typeIfLj4EEPS0_PKiiii.uses_flat_scratch, 0
	.set _Z13mergeSortPassPK15HIP_vector_typeIfLj4EEPS0_PKiiii.has_dyn_sized_stack, 0
	.set _Z13mergeSortPassPK15HIP_vector_typeIfLj4EEPS0_PKiiii.has_recursion, 0
	.set _Z13mergeSortPassPK15HIP_vector_typeIfLj4EEPS0_PKiiii.has_indirect_call, 0
	.section	.AMDGPU.csdata,"",@progbits
; Kernel info:
; codeLenInByte = 1616
; TotalNumSgprs: 23
; NumVgprs: 43
; ScratchSize: 0
; MemoryBound: 0
; FloatMode: 240
; IeeeMode: 1
; LDSByteSize: 0 bytes/workgroup (compile time only)
; SGPRBlocks: 0
; VGPRBlocks: 2
; NumSGPRsForWavesPerEU: 23
; NumVGPRsForWavesPerEU: 43
; NamedBarCnt: 0
; Occupancy: 16
; WaveLimiterHint : 1
; COMPUTE_PGM_RSRC2:SCRATCH_EN: 0
; COMPUTE_PGM_RSRC2:USER_SGPR: 2
; COMPUTE_PGM_RSRC2:TRAP_HANDLER: 0
; COMPUTE_PGM_RSRC2:TGID_X_EN: 1
; COMPUTE_PGM_RSRC2:TGID_Y_EN: 0
; COMPUTE_PGM_RSRC2:TGID_Z_EN: 0
; COMPUTE_PGM_RSRC2:TIDIG_COMP_CNT: 0
	.text
	.protected	_Z9mergepackPfPKfPKiPKjS5_ ; -- Begin function _Z9mergepackPfPKfPKiPKjS5_
	.globl	_Z9mergepackPfPKfPKiPKjS5_
	.p2align	8
	.type	_Z9mergepackPfPKfPKiPKjS5_,@function
_Z9mergepackPfPKfPKiPKjS5_:             ; @_Z9mergepackPfPKfPKiPKjS5_
; %bb.0:
	s_clause 0x1
	s_load_b32 s2, s[0:1], 0x34
	s_load_b256 s[4:11], s[0:1], 0x0
	s_bfe_u32 s12, ttmp6, 0x4000c
	s_bfe_u32 s13, ttmp6, 0x40010
	s_add_co_i32 s12, s12, 1
	s_add_co_i32 s13, s13, 1
	s_and_b32 s3, ttmp6, 15
	s_bfe_u32 s14, ttmp6, 0x40004
	s_mul_i32 s12, ttmp9, s12
	s_mul_i32 s13, ttmp7, s13
	s_getreg_b32 s15, hwreg(HW_REG_IB_STS2, 6, 4)
	s_add_co_i32 s3, s3, s12
	s_add_co_i32 s14, s14, s13
	s_wait_kmcnt 0x0
	s_and_b32 s16, s2, 0xffff
	s_cmp_eq_u32 s15, 0
	s_cselect_b32 s2, ttmp7, s14
	s_cselect_b32 s14, ttmp9, s3
	s_ashr_i32 s3, s2, 31
	v_mad_u32 v1, s14, s16, v0
	s_lshl_b64 s[2:3], s[2:3], 2
	s_delay_alu instid0(SALU_CYCLE_1) | instskip(SKIP_4) | instid1(VALU_DEP_1)
	s_add_nc_u64 s[10:11], s[10:11], s[2:3]
	s_load_b64 s[12:13], s[10:11], 0x0
	s_wait_xcnt 0x0
	s_mov_b32 s10, exec_lo
	s_wait_kmcnt 0x0
	v_add_nc_u32_e32 v0, s12, v1
	s_delay_alu instid0(VALU_DEP_1)
	v_cmpx_gt_u32_e64 s13, v0
	s_cbranch_execz .LBB2_2
; %bb.1:
	s_load_b64 s[0:1], s[0:1], 0x20
	s_add_nc_u64 s[8:9], s[8:9], s[2:3]
	s_load_b32 s8, s[8:9], 0x0
	s_wait_kmcnt 0x0
	s_add_nc_u64 s[0:1], s[0:1], s[2:3]
	s_load_b32 s0, s[0:1], 0x0
	s_wait_xcnt 0x0
	s_lshl_b32 s1, s8, 2
	s_wait_kmcnt 0x0
	v_add3_u32 v1, s1, s0, v1
	global_load_b32 v1, v1, s[6:7] scale_offset
	s_wait_loadcnt 0x0
	global_store_b32 v0, v1, s[4:5] scale_offset
.LBB2_2:
	s_endpgm
	.section	.rodata,"a",@progbits
	.p2align	6, 0x0
	.amdhsa_kernel _Z9mergepackPfPKfPKiPKjS5_
		.amdhsa_group_segment_fixed_size 0
		.amdhsa_private_segment_fixed_size 0
		.amdhsa_kernarg_size 296
		.amdhsa_user_sgpr_count 2
		.amdhsa_user_sgpr_dispatch_ptr 0
		.amdhsa_user_sgpr_queue_ptr 0
		.amdhsa_user_sgpr_kernarg_segment_ptr 1
		.amdhsa_user_sgpr_dispatch_id 0
		.amdhsa_user_sgpr_kernarg_preload_length 0
		.amdhsa_user_sgpr_kernarg_preload_offset 0
		.amdhsa_user_sgpr_private_segment_size 0
		.amdhsa_wavefront_size32 1
		.amdhsa_uses_dynamic_stack 0
		.amdhsa_enable_private_segment 0
		.amdhsa_system_sgpr_workgroup_id_x 1
		.amdhsa_system_sgpr_workgroup_id_y 1
		.amdhsa_system_sgpr_workgroup_id_z 0
		.amdhsa_system_sgpr_workgroup_info 0
		.amdhsa_system_vgpr_workitem_id 0
		.amdhsa_next_free_vgpr 2
		.amdhsa_next_free_sgpr 17
		.amdhsa_named_barrier_count 0
		.amdhsa_reserve_vcc 0
		.amdhsa_float_round_mode_32 0
		.amdhsa_float_round_mode_16_64 0
		.amdhsa_float_denorm_mode_32 3
		.amdhsa_float_denorm_mode_16_64 3
		.amdhsa_fp16_overflow 0
		.amdhsa_memory_ordered 1
		.amdhsa_forward_progress 1
		.amdhsa_inst_pref_size 2
		.amdhsa_round_robin_scheduling 0
		.amdhsa_exception_fp_ieee_invalid_op 0
		.amdhsa_exception_fp_denorm_src 0
		.amdhsa_exception_fp_ieee_div_zero 0
		.amdhsa_exception_fp_ieee_overflow 0
		.amdhsa_exception_fp_ieee_underflow 0
		.amdhsa_exception_fp_ieee_inexact 0
		.amdhsa_exception_int_div_zero 0
	.end_amdhsa_kernel
	.text
.Lfunc_end2:
	.size	_Z9mergepackPfPKfPKiPKjS5_, .Lfunc_end2-_Z9mergepackPfPKfPKiPKjS5_
                                        ; -- End function
	.set _Z9mergepackPfPKfPKiPKjS5_.num_vgpr, 2
	.set _Z9mergepackPfPKfPKiPKjS5_.num_agpr, 0
	.set _Z9mergepackPfPKfPKiPKjS5_.numbered_sgpr, 17
	.set _Z9mergepackPfPKfPKiPKjS5_.num_named_barrier, 0
	.set _Z9mergepackPfPKfPKiPKjS5_.private_seg_size, 0
	.set _Z9mergepackPfPKfPKiPKjS5_.uses_vcc, 0
	.set _Z9mergepackPfPKfPKiPKjS5_.uses_flat_scratch, 0
	.set _Z9mergepackPfPKfPKiPKjS5_.has_dyn_sized_stack, 0
	.set _Z9mergepackPfPKfPKiPKjS5_.has_recursion, 0
	.set _Z9mergepackPfPKfPKiPKjS5_.has_indirect_call, 0
	.section	.AMDGPU.csdata,"",@progbits
; Kernel info:
; codeLenInByte = 252
; TotalNumSgprs: 17
; NumVgprs: 2
; ScratchSize: 0
; MemoryBound: 0
; FloatMode: 240
; IeeeMode: 1
; LDSByteSize: 0 bytes/workgroup (compile time only)
; SGPRBlocks: 0
; VGPRBlocks: 0
; NumSGPRsForWavesPerEU: 17
; NumVGPRsForWavesPerEU: 2
; NamedBarCnt: 0
; Occupancy: 16
; WaveLimiterHint : 1
; COMPUTE_PGM_RSRC2:SCRATCH_EN: 0
; COMPUTE_PGM_RSRC2:USER_SGPR: 2
; COMPUTE_PGM_RSRC2:TRAP_HANDLER: 0
; COMPUTE_PGM_RSRC2:TGID_X_EN: 1
; COMPUTE_PGM_RSRC2:TGID_Y_EN: 1
; COMPUTE_PGM_RSRC2:TGID_Z_EN: 0
; COMPUTE_PGM_RSRC2:TIDIG_COMP_CNT: 0
	.text
	.p2alignl 7, 3214868480
	.fill 96, 4, 3214868480
	.section	.AMDGPU.gpr_maximums,"",@progbits
	.set amdgpu.max_num_vgpr, 0
	.set amdgpu.max_num_agpr, 0
	.set amdgpu.max_num_sgpr, 0
	.text
	.type	__hip_cuid_7db4917bb8184399,@object ; @__hip_cuid_7db4917bb8184399
	.section	.bss,"aw",@nobits
	.globl	__hip_cuid_7db4917bb8184399
__hip_cuid_7db4917bb8184399:
	.byte	0                               ; 0x0
	.size	__hip_cuid_7db4917bb8184399, 1

	.ident	"AMD clang version 22.0.0git (https://github.com/RadeonOpenCompute/llvm-project roc-7.2.4 26084 f58b06dce1f9c15707c5f808fd002e18c2accf7e)"
	.section	".note.GNU-stack","",@progbits
	.addrsig
	.addrsig_sym __hip_cuid_7db4917bb8184399
	.amdgpu_metadata
---
amdhsa.kernels:
  - .args:
      - .address_space:  global
        .offset:         0
        .size:           8
        .value_kind:     global_buffer
      - .address_space:  global
        .offset:         8
        .size:           8
        .value_kind:     global_buffer
      - .offset:         16
        .size:           4
        .value_kind:     by_value
      - .offset:         24
        .size:           4
        .value_kind:     hidden_block_count_x
      - .offset:         28
        .size:           4
        .value_kind:     hidden_block_count_y
      - .offset:         32
        .size:           4
        .value_kind:     hidden_block_count_z
      - .offset:         36
        .size:           2
        .value_kind:     hidden_group_size_x
      - .offset:         38
        .size:           2
        .value_kind:     hidden_group_size_y
      - .offset:         40
        .size:           2
        .value_kind:     hidden_group_size_z
      - .offset:         42
        .size:           2
        .value_kind:     hidden_remainder_x
      - .offset:         44
        .size:           2
        .value_kind:     hidden_remainder_y
      - .offset:         46
        .size:           2
        .value_kind:     hidden_remainder_z
      - .offset:         64
        .size:           8
        .value_kind:     hidden_global_offset_x
      - .offset:         72
        .size:           8
        .value_kind:     hidden_global_offset_y
      - .offset:         80
        .size:           8
        .value_kind:     hidden_global_offset_z
      - .offset:         88
        .size:           2
        .value_kind:     hidden_grid_dims
    .group_segment_fixed_size: 0
    .kernarg_segment_align: 8
    .kernarg_segment_size: 280
    .language:       OpenCL C
    .language_version:
      - 2
      - 0
    .max_flat_workgroup_size: 1024
    .name:           _Z11sortElementP15HIP_vector_typeIfLj4EES1_i
    .private_segment_fixed_size: 0
    .sgpr_count:     9
    .sgpr_spill_count: 0
    .symbol:         _Z11sortElementP15HIP_vector_typeIfLj4EES1_i.kd
    .uniform_work_group_size: 1
    .uses_dynamic_stack: false
    .vgpr_count:     8
    .vgpr_spill_count: 0
    .wavefront_size: 32
  - .args:
      - .address_space:  global
        .offset:         0
        .size:           8
        .value_kind:     global_buffer
      - .address_space:  global
        .offset:         8
        .size:           8
        .value_kind:     global_buffer
      - .address_space:  global
        .offset:         16
        .size:           8
        .value_kind:     global_buffer
      - .offset:         24
        .size:           4
        .value_kind:     by_value
      - .offset:         28
        .size:           4
        .value_kind:     by_value
      - .offset:         32
        .size:           4
        .value_kind:     by_value
      - .offset:         40
        .size:           4
        .value_kind:     hidden_block_count_x
      - .offset:         44
        .size:           4
        .value_kind:     hidden_block_count_y
      - .offset:         48
        .size:           4
        .value_kind:     hidden_block_count_z
      - .offset:         52
        .size:           2
        .value_kind:     hidden_group_size_x
      - .offset:         54
        .size:           2
        .value_kind:     hidden_group_size_y
      - .offset:         56
        .size:           2
        .value_kind:     hidden_group_size_z
      - .offset:         58
        .size:           2
        .value_kind:     hidden_remainder_x
      - .offset:         60
        .size:           2
        .value_kind:     hidden_remainder_y
      - .offset:         62
        .size:           2
        .value_kind:     hidden_remainder_z
      - .offset:         80
        .size:           8
        .value_kind:     hidden_global_offset_x
      - .offset:         88
        .size:           8
        .value_kind:     hidden_global_offset_y
      - .offset:         96
        .size:           8
        .value_kind:     hidden_global_offset_z
      - .offset:         104
        .size:           2
        .value_kind:     hidden_grid_dims
    .group_segment_fixed_size: 0
    .kernarg_segment_align: 8
    .kernarg_segment_size: 296
    .language:       OpenCL C
    .language_version:
      - 2
      - 0
    .max_flat_workgroup_size: 1024
    .name:           _Z13mergeSortPassPK15HIP_vector_typeIfLj4EEPS0_PKiiii
    .private_segment_fixed_size: 0
    .sgpr_count:     23
    .sgpr_spill_count: 0
    .symbol:         _Z13mergeSortPassPK15HIP_vector_typeIfLj4EEPS0_PKiiii.kd
    .uniform_work_group_size: 1
    .uses_dynamic_stack: false
    .vgpr_count:     43
    .vgpr_spill_count: 0
    .wavefront_size: 32
  - .args:
      - .address_space:  global
        .offset:         0
        .size:           8
        .value_kind:     global_buffer
      - .address_space:  global
        .offset:         8
        .size:           8
        .value_kind:     global_buffer
      - .address_space:  global
        .offset:         16
        .size:           8
        .value_kind:     global_buffer
      - .address_space:  global
        .offset:         24
        .size:           8
        .value_kind:     global_buffer
      - .address_space:  global
        .offset:         32
        .size:           8
        .value_kind:     global_buffer
      - .offset:         40
        .size:           4
        .value_kind:     hidden_block_count_x
      - .offset:         44
        .size:           4
        .value_kind:     hidden_block_count_y
      - .offset:         48
        .size:           4
        .value_kind:     hidden_block_count_z
      - .offset:         52
        .size:           2
        .value_kind:     hidden_group_size_x
      - .offset:         54
        .size:           2
        .value_kind:     hidden_group_size_y
      - .offset:         56
        .size:           2
        .value_kind:     hidden_group_size_z
      - .offset:         58
        .size:           2
        .value_kind:     hidden_remainder_x
      - .offset:         60
        .size:           2
        .value_kind:     hidden_remainder_y
      - .offset:         62
        .size:           2
        .value_kind:     hidden_remainder_z
      - .offset:         80
        .size:           8
        .value_kind:     hidden_global_offset_x
      - .offset:         88
        .size:           8
        .value_kind:     hidden_global_offset_y
      - .offset:         96
        .size:           8
        .value_kind:     hidden_global_offset_z
      - .offset:         104
        .size:           2
        .value_kind:     hidden_grid_dims
    .group_segment_fixed_size: 0
    .kernarg_segment_align: 8
    .kernarg_segment_size: 296
    .language:       OpenCL C
    .language_version:
      - 2
      - 0
    .max_flat_workgroup_size: 1024
    .name:           _Z9mergepackPfPKfPKiPKjS5_
    .private_segment_fixed_size: 0
    .sgpr_count:     17
    .sgpr_spill_count: 0
    .symbol:         _Z9mergepackPfPKfPKiPKjS5_.kd
    .uniform_work_group_size: 1
    .uses_dynamic_stack: false
    .vgpr_count:     2
    .vgpr_spill_count: 0
    .wavefront_size: 32
amdhsa.target:   amdgcn-amd-amdhsa--gfx1250
amdhsa.version:
  - 1
  - 2
...

	.end_amdgpu_metadata
